;; amdgpu-corpus repo=ROCm/rocFFT kind=compiled arch=gfx906 opt=O3
	.text
	.amdgcn_target "amdgcn-amd-amdhsa--gfx906"
	.amdhsa_code_object_version 6
	.protected	fft_rtc_fwd_len624_factors_13_4_6_2_wgs_52_tpt_52_dp_ip_CI_unitstride_sbrr_dirReg ; -- Begin function fft_rtc_fwd_len624_factors_13_4_6_2_wgs_52_tpt_52_dp_ip_CI_unitstride_sbrr_dirReg
	.globl	fft_rtc_fwd_len624_factors_13_4_6_2_wgs_52_tpt_52_dp_ip_CI_unitstride_sbrr_dirReg
	.p2align	8
	.type	fft_rtc_fwd_len624_factors_13_4_6_2_wgs_52_tpt_52_dp_ip_CI_unitstride_sbrr_dirReg,@function
fft_rtc_fwd_len624_factors_13_4_6_2_wgs_52_tpt_52_dp_ip_CI_unitstride_sbrr_dirReg: ; @fft_rtc_fwd_len624_factors_13_4_6_2_wgs_52_tpt_52_dp_ip_CI_unitstride_sbrr_dirReg
; %bb.0:
	s_load_dwordx2 s[12:13], s[4:5], 0x50
	s_load_dwordx4 s[8:11], s[4:5], 0x0
	s_load_dwordx2 s[2:3], s[4:5], 0x18
	v_mul_u32_u24_e32 v1, 0x4ed, v0
	v_add_u32_sdwa v5, s6, v1 dst_sel:DWORD dst_unused:UNUSED_PAD src0_sel:DWORD src1_sel:WORD_1
	v_mov_b32_e32 v3, 0
	s_waitcnt lgkmcnt(0)
	v_cmp_lt_u64_e64 s[0:1], s[10:11], 2
	v_mov_b32_e32 v1, 0
	v_mov_b32_e32 v6, v3
	s_and_b64 vcc, exec, s[0:1]
	v_mov_b32_e32 v2, 0
	s_cbranch_vccnz .LBB0_8
; %bb.1:
	s_load_dwordx2 s[0:1], s[4:5], 0x10
	s_add_u32 s6, s2, 8
	s_addc_u32 s7, s3, 0
	v_mov_b32_e32 v1, 0
	v_mov_b32_e32 v2, 0
	s_waitcnt lgkmcnt(0)
	s_add_u32 s14, s0, 8
	s_addc_u32 s15, s1, 0
	s_mov_b64 s[16:17], 1
.LBB0_2:                                ; =>This Inner Loop Header: Depth=1
	s_load_dwordx2 s[18:19], s[14:15], 0x0
                                        ; implicit-def: $vgpr7_vgpr8
	s_waitcnt lgkmcnt(0)
	v_or_b32_e32 v4, s19, v6
	v_cmp_ne_u64_e32 vcc, 0, v[3:4]
	s_and_saveexec_b64 s[0:1], vcc
	s_xor_b64 s[20:21], exec, s[0:1]
	s_cbranch_execz .LBB0_4
; %bb.3:                                ;   in Loop: Header=BB0_2 Depth=1
	v_cvt_f32_u32_e32 v4, s18
	v_cvt_f32_u32_e32 v7, s19
	s_sub_u32 s0, 0, s18
	s_subb_u32 s1, 0, s19
	v_mac_f32_e32 v4, 0x4f800000, v7
	v_rcp_f32_e32 v4, v4
	v_mul_f32_e32 v4, 0x5f7ffffc, v4
	v_mul_f32_e32 v7, 0x2f800000, v4
	v_trunc_f32_e32 v7, v7
	v_mac_f32_e32 v4, 0xcf800000, v7
	v_cvt_u32_f32_e32 v7, v7
	v_cvt_u32_f32_e32 v4, v4
	v_mul_lo_u32 v8, s0, v7
	v_mul_hi_u32 v9, s0, v4
	v_mul_lo_u32 v11, s1, v4
	v_mul_lo_u32 v10, s0, v4
	v_add_u32_e32 v8, v9, v8
	v_add_u32_e32 v8, v8, v11
	v_mul_hi_u32 v9, v4, v10
	v_mul_lo_u32 v11, v4, v8
	v_mul_hi_u32 v13, v4, v8
	v_mul_hi_u32 v12, v7, v10
	v_mul_lo_u32 v10, v7, v10
	v_mul_hi_u32 v14, v7, v8
	v_add_co_u32_e32 v9, vcc, v9, v11
	v_addc_co_u32_e32 v11, vcc, 0, v13, vcc
	v_mul_lo_u32 v8, v7, v8
	v_add_co_u32_e32 v9, vcc, v9, v10
	v_addc_co_u32_e32 v9, vcc, v11, v12, vcc
	v_addc_co_u32_e32 v10, vcc, 0, v14, vcc
	v_add_co_u32_e32 v8, vcc, v9, v8
	v_addc_co_u32_e32 v9, vcc, 0, v10, vcc
	v_add_co_u32_e32 v4, vcc, v4, v8
	v_addc_co_u32_e32 v7, vcc, v7, v9, vcc
	v_mul_lo_u32 v8, s0, v7
	v_mul_hi_u32 v9, s0, v4
	v_mul_lo_u32 v10, s1, v4
	v_mul_lo_u32 v11, s0, v4
	v_add_u32_e32 v8, v9, v8
	v_add_u32_e32 v8, v8, v10
	v_mul_lo_u32 v12, v4, v8
	v_mul_hi_u32 v13, v4, v11
	v_mul_hi_u32 v14, v4, v8
	;; [unrolled: 1-line block ×3, first 2 shown]
	v_mul_lo_u32 v11, v7, v11
	v_mul_hi_u32 v9, v7, v8
	v_add_co_u32_e32 v12, vcc, v13, v12
	v_addc_co_u32_e32 v13, vcc, 0, v14, vcc
	v_mul_lo_u32 v8, v7, v8
	v_add_co_u32_e32 v11, vcc, v12, v11
	v_addc_co_u32_e32 v10, vcc, v13, v10, vcc
	v_addc_co_u32_e32 v9, vcc, 0, v9, vcc
	v_add_co_u32_e32 v8, vcc, v10, v8
	v_addc_co_u32_e32 v9, vcc, 0, v9, vcc
	v_add_co_u32_e32 v4, vcc, v4, v8
	v_addc_co_u32_e32 v9, vcc, v7, v9, vcc
	v_mad_u64_u32 v[7:8], s[0:1], v5, v9, 0
	v_mul_hi_u32 v10, v5, v4
	v_add_co_u32_e32 v11, vcc, v10, v7
	v_addc_co_u32_e32 v12, vcc, 0, v8, vcc
	v_mad_u64_u32 v[7:8], s[0:1], v6, v4, 0
	v_mad_u64_u32 v[9:10], s[0:1], v6, v9, 0
	v_add_co_u32_e32 v4, vcc, v11, v7
	v_addc_co_u32_e32 v4, vcc, v12, v8, vcc
	v_addc_co_u32_e32 v7, vcc, 0, v10, vcc
	v_add_co_u32_e32 v4, vcc, v4, v9
	v_addc_co_u32_e32 v9, vcc, 0, v7, vcc
	v_mul_lo_u32 v10, s19, v4
	v_mul_lo_u32 v11, s18, v9
	v_mad_u64_u32 v[7:8], s[0:1], s18, v4, 0
	v_add3_u32 v8, v8, v11, v10
	v_sub_u32_e32 v10, v6, v8
	v_mov_b32_e32 v11, s19
	v_sub_co_u32_e32 v7, vcc, v5, v7
	v_subb_co_u32_e64 v10, s[0:1], v10, v11, vcc
	v_subrev_co_u32_e64 v11, s[0:1], s18, v7
	v_subbrev_co_u32_e64 v10, s[0:1], 0, v10, s[0:1]
	v_cmp_le_u32_e64 s[0:1], s19, v10
	v_cndmask_b32_e64 v12, 0, -1, s[0:1]
	v_cmp_le_u32_e64 s[0:1], s18, v11
	v_cndmask_b32_e64 v11, 0, -1, s[0:1]
	v_cmp_eq_u32_e64 s[0:1], s19, v10
	v_cndmask_b32_e64 v10, v12, v11, s[0:1]
	v_add_co_u32_e64 v11, s[0:1], 2, v4
	v_addc_co_u32_e64 v12, s[0:1], 0, v9, s[0:1]
	v_add_co_u32_e64 v13, s[0:1], 1, v4
	v_addc_co_u32_e64 v14, s[0:1], 0, v9, s[0:1]
	v_subb_co_u32_e32 v8, vcc, v6, v8, vcc
	v_cmp_ne_u32_e64 s[0:1], 0, v10
	v_cmp_le_u32_e32 vcc, s19, v8
	v_cndmask_b32_e64 v10, v14, v12, s[0:1]
	v_cndmask_b32_e64 v12, 0, -1, vcc
	v_cmp_le_u32_e32 vcc, s18, v7
	v_cndmask_b32_e64 v7, 0, -1, vcc
	v_cmp_eq_u32_e32 vcc, s19, v8
	v_cndmask_b32_e32 v7, v12, v7, vcc
	v_cmp_ne_u32_e32 vcc, 0, v7
	v_cndmask_b32_e64 v7, v13, v11, s[0:1]
	v_cndmask_b32_e32 v8, v9, v10, vcc
	v_cndmask_b32_e32 v7, v4, v7, vcc
.LBB0_4:                                ;   in Loop: Header=BB0_2 Depth=1
	s_andn2_saveexec_b64 s[0:1], s[20:21]
	s_cbranch_execz .LBB0_6
; %bb.5:                                ;   in Loop: Header=BB0_2 Depth=1
	v_cvt_f32_u32_e32 v4, s18
	s_sub_i32 s20, 0, s18
	v_rcp_iflag_f32_e32 v4, v4
	v_mul_f32_e32 v4, 0x4f7ffffe, v4
	v_cvt_u32_f32_e32 v4, v4
	v_mul_lo_u32 v7, s20, v4
	v_mul_hi_u32 v7, v4, v7
	v_add_u32_e32 v4, v4, v7
	v_mul_hi_u32 v4, v5, v4
	v_mul_lo_u32 v7, v4, s18
	v_add_u32_e32 v8, 1, v4
	v_sub_u32_e32 v7, v5, v7
	v_subrev_u32_e32 v9, s18, v7
	v_cmp_le_u32_e32 vcc, s18, v7
	v_cndmask_b32_e32 v7, v7, v9, vcc
	v_cndmask_b32_e32 v4, v4, v8, vcc
	v_add_u32_e32 v8, 1, v4
	v_cmp_le_u32_e32 vcc, s18, v7
	v_cndmask_b32_e32 v7, v4, v8, vcc
	v_mov_b32_e32 v8, v3
.LBB0_6:                                ;   in Loop: Header=BB0_2 Depth=1
	s_or_b64 exec, exec, s[0:1]
	v_mul_lo_u32 v4, v8, s18
	v_mul_lo_u32 v11, v7, s19
	v_mad_u64_u32 v[9:10], s[0:1], v7, s18, 0
	s_load_dwordx2 s[0:1], s[6:7], 0x0
	s_add_u32 s16, s16, 1
	v_add3_u32 v4, v10, v11, v4
	v_sub_co_u32_e32 v5, vcc, v5, v9
	v_subb_co_u32_e32 v4, vcc, v6, v4, vcc
	s_waitcnt lgkmcnt(0)
	v_mul_lo_u32 v4, s0, v4
	v_mul_lo_u32 v6, s1, v5
	v_mad_u64_u32 v[1:2], s[0:1], s0, v5, v[1:2]
	s_addc_u32 s17, s17, 0
	s_add_u32 s6, s6, 8
	v_add3_u32 v2, v6, v2, v4
	v_mov_b32_e32 v4, s10
	v_mov_b32_e32 v5, s11
	s_addc_u32 s7, s7, 0
	v_cmp_ge_u64_e32 vcc, s[16:17], v[4:5]
	s_add_u32 s14, s14, 8
	s_addc_u32 s15, s15, 0
	s_cbranch_vccnz .LBB0_9
; %bb.7:                                ;   in Loop: Header=BB0_2 Depth=1
	v_mov_b32_e32 v5, v7
	v_mov_b32_e32 v6, v8
	s_branch .LBB0_2
.LBB0_8:
	v_mov_b32_e32 v8, v6
	v_mov_b32_e32 v7, v5
.LBB0_9:
	s_lshl_b64 s[0:1], s[10:11], 3
	s_add_u32 s0, s2, s0
	s_addc_u32 s1, s3, s1
	s_load_dwordx2 s[2:3], s[0:1], 0x0
	s_load_dwordx2 s[6:7], s[4:5], 0x20
                                        ; implicit-def: $vgpr42_vgpr43
                                        ; implicit-def: $vgpr38_vgpr39
                                        ; implicit-def: $vgpr14_vgpr15
                                        ; implicit-def: $vgpr30_vgpr31
                                        ; implicit-def: $vgpr26_vgpr27
                                        ; implicit-def: $vgpr10_vgpr11
                                        ; implicit-def: $vgpr18_vgpr19
                                        ; implicit-def: $vgpr34_vgpr35
                                        ; implicit-def: $vgpr22_vgpr23
                                        ; implicit-def: $vgpr46_vgpr47
                                        ; implicit-def: $vgpr50_vgpr51
	s_waitcnt lgkmcnt(0)
	v_mad_u64_u32 v[1:2], s[0:1], s2, v7, v[1:2]
	s_mov_b32 s0, 0x4ec4ec5
	v_mul_lo_u32 v3, s2, v8
	v_mul_lo_u32 v4, s3, v7
	v_mul_hi_u32 v5, v0, s0
	v_cmp_gt_u64_e32 vcc, s[6:7], v[7:8]
                                        ; implicit-def: $vgpr6_vgpr7
	v_add3_u32 v2, v4, v2, v3
	v_mul_u32_u24_e32 v3, 52, v5
	v_sub_u32_e32 v54, v0, v3
	v_cmp_gt_u32_e64 s[0:1], 48, v54
	v_lshlrev_b64 v[52:53], 4, v[1:2]
	s_and_b64 s[2:3], vcc, s[0:1]
                                        ; implicit-def: $vgpr2_vgpr3
	s_and_saveexec_b64 s[4:5], s[2:3]
	s_cbranch_execz .LBB0_11
; %bb.10:
	v_mov_b32_e32 v55, 0
	v_mov_b32_e32 v0, s13
	v_add_co_u32_e64 v10, s[2:3], s12, v52
	v_addc_co_u32_e64 v11, s[2:3], v0, v53, s[2:3]
	v_lshlrev_b64 v[0:1], 4, v[54:55]
	v_or_b32_e32 v8, 0x180, v54
	v_add_co_u32_e64 v56, s[2:3], v10, v0
	v_addc_co_u32_e64 v57, s[2:3], v11, v1, s[2:3]
	s_movk_i32 s2, 0x1000
	v_mov_b32_e32 v9, v55
	v_add_co_u32_e64 v58, s[2:3], s2, v56
	v_lshlrev_b64 v[8:9], 4, v[8:9]
	v_addc_co_u32_e64 v59, s[2:3], 0, v57, s[2:3]
	v_add_co_u32_e64 v60, s[2:3], v10, v8
	v_addc_co_u32_e64 v61, s[2:3], v11, v9, s[2:3]
	s_movk_i32 s2, 0x2000
	v_or_b32_e32 v8, 0x240, v54
	v_mov_b32_e32 v9, v55
	v_add_co_u32_e64 v62, s[2:3], s2, v56
	v_lshlrev_b64 v[8:9], 4, v[8:9]
	v_addc_co_u32_e64 v63, s[2:3], 0, v57, s[2:3]
	v_add_co_u32_e64 v64, s[2:3], v10, v8
	global_load_dwordx4 v[0:3], v[56:57], off
	global_load_dwordx4 v[4:7], v[56:57], off offset:768
	v_addc_co_u32_e64 v65, s[2:3], v11, v9, s[2:3]
	global_load_dwordx4 v[40:43], v[56:57], off offset:1536
	global_load_dwordx4 v[48:51], v[56:57], off offset:2304
	;; [unrolled: 1-line block ×8, first 2 shown]
	global_load_dwordx4 v[32:35], v[60:61], off
	global_load_dwordx4 v[16:19], v[62:63], off offset:256
	global_load_dwordx4 v[8:11], v[64:65], off
.LBB0_11:
	s_or_b64 exec, exec, s[4:5]
	s_and_saveexec_b64 s[2:3], s[0:1]
	s_cbranch_execz .LBB0_13
; %bb.12:
	s_waitcnt vmcnt(11)
	v_add_f64 v[55:56], v[6:7], v[2:3]
	v_add_f64 v[67:68], v[4:5], v[0:1]
	s_waitcnt vmcnt(2)
	v_add_f64 v[63:64], v[38:39], v[34:35]
	v_add_f64 v[69:70], v[38:39], -v[34:35]
	v_add_f64 v[79:80], v[44:45], -v[28:29]
	s_mov_b32 s4, 0x4bc48dbf
	s_mov_b32 s5, 0xbfcea1e5
	v_add_f64 v[59:60], v[12:13], -v[20:21]
	v_add_f64 v[73:74], v[42:43], v[55:56]
	v_add_f64 v[83:84], v[40:41], v[67:68]
	;; [unrolled: 1-line block ×4, first 2 shown]
	v_add_f64 v[71:72], v[36:37], -v[32:33]
	v_add_f64 v[61:62], v[36:37], v[32:33]
	v_add_f64 v[75:76], v[26:27], v[50:51]
	v_add_f64 v[81:82], v[48:49], -v[24:25]
	v_add_f64 v[85:86], v[50:51], v[73:74]
	v_add_f64 v[87:88], v[48:49], v[83:84]
	s_waitcnt vmcnt(0)
	v_add_f64 v[83:84], v[4:5], -v[8:9]
	v_add_f64 v[73:74], v[24:25], v[48:49]
	v_add_f64 v[48:49], v[50:51], -v[26:27]
	v_add_f64 v[50:51], v[40:41], -v[16:17]
	s_mov_b32 s0, 0x93053d00
	s_mov_b32 s25, 0x3fddbe06
	v_add_f64 v[85:86], v[46:47], v[85:86]
	v_add_f64 v[87:88], v[44:45], v[87:88]
	v_add_f64 v[44:45], v[6:7], -v[10:11]
	s_mov_b32 s24, 0x4267c47c
	s_mov_b32 s1, 0xbfef11f4
	v_add_f64 v[65:66], v[30:31], v[46:47]
	v_add_f64 v[77:78], v[46:47], -v[30:31]
	v_add_f64 v[46:47], v[42:43], v[18:19]
	v_add_f64 v[85:86], v[38:39], v[85:86]
	;; [unrolled: 1-line block ×5, first 2 shown]
	v_mul_f64 v[4:5], v[83:84], s[4:5]
	s_mov_b32 s6, 0xe00740e9
	s_mov_b32 s14, 0x24c2f84
	v_add_f64 v[42:43], v[42:43], -v[18:19]
	v_add_f64 v[85:86], v[14:15], v[85:86]
	s_mov_b32 s7, 0x3fec55a7
	v_add_f64 v[6:7], v[12:13], v[6:7]
	s_mov_b32 s15, 0xbfe5384d
	v_fma_f64 v[89:90], v[38:39], s[0:1], -v[4:5]
	v_mul_f64 v[87:88], v[44:45], s[4:5]
	v_mul_f64 v[91:92], v[81:82], s[14:15]
	s_mov_b32 s10, 0xd0032e0c
	v_add_f64 v[12:13], v[22:23], v[85:86]
	v_mul_f64 v[85:86], v[50:51], s[24:25]
	v_add_f64 v[6:7], v[20:21], v[6:7]
	s_mov_b32 s36, 0x42a4c3d2
	v_add_f64 v[89:90], v[89:90], v[2:3]
	v_add_f64 v[40:41], v[40:41], v[16:17]
	s_mov_b32 s11, 0xbfe7f3cc
	s_mov_b32 s37, 0x3fea55e2
	v_add_f64 v[12:13], v[34:35], v[12:13]
	v_fma_f64 v[20:21], v[46:47], s[6:7], -v[85:86]
	v_mul_f64 v[34:35], v[42:43], s[24:25]
	v_fma_f64 v[93:94], v[36:37], s[0:1], v[87:88]
	v_add_f64 v[6:7], v[32:33], v[6:7]
	v_fma_f64 v[97:98], v[75:76], s[10:11], -v[91:92]
	s_mov_b32 s16, 0x1ea71119
	s_mov_b32 s20, 0x2ef20147
	v_add_f64 v[12:13], v[30:31], v[12:13]
	v_mul_f64 v[30:31], v[79:80], s[36:37]
	v_add_f64 v[20:21], v[20:21], v[89:90]
	v_mul_f64 v[32:33], v[48:49], s[14:15]
	v_fma_f64 v[95:96], v[40:41], s[6:7], v[34:35]
	v_add_f64 v[89:90], v[93:94], v[0:1]
	s_mov_b32 s17, 0x3fe22d96
	s_mov_b32 s21, 0xbfedeba7
	v_add_f64 v[12:13], v[26:27], v[12:13]
	v_add_f64 v[6:7], v[28:29], v[6:7]
	v_fma_f64 v[28:29], v[65:66], s[16:17], -v[30:31]
	v_add_f64 v[20:21], v[97:98], v[20:21]
	v_fma_f64 v[4:5], v[38:39], s[0:1], v[4:5]
	s_mov_b32 s18, 0xb2365da1
	v_mul_f64 v[26:27], v[77:78], s[36:37]
	v_fma_f64 v[93:94], v[73:74], s[10:11], v[32:33]
	v_add_f64 v[12:13], v[18:19], v[12:13]
	v_mul_f64 v[18:19], v[71:72], s[20:21]
	v_add_f64 v[89:90], v[95:96], v[89:90]
	s_mov_b32 s19, 0xbfd6b1d8
	v_add_f64 v[57:58], v[14:15], v[22:23]
	v_add_f64 v[6:7], v[24:25], v[6:7]
	;; [unrolled: 1-line block ×3, first 2 shown]
	v_fma_f64 v[85:86], v[46:47], s[6:7], v[85:86]
	v_add_f64 v[4:5], v[4:5], v[2:3]
	v_fma_f64 v[95:96], v[63:64], s[18:19], -v[18:19]
	v_add_f64 v[20:21], v[14:15], -v[22:23]
	v_fma_f64 v[22:23], v[36:37], s[0:1], -v[87:88]
	v_add_f64 v[28:29], v[93:94], v[89:90]
	v_fma_f64 v[89:90], v[67:68], s[16:17], v[26:27]
	v_mul_f64 v[93:94], v[69:70], s[20:21]
	v_add_f64 v[16:17], v[16:17], v[6:7]
	v_add_f64 v[6:7], v[10:11], v[12:13]
	;; [unrolled: 1-line block ×4, first 2 shown]
	v_fma_f64 v[12:13], v[75:76], s[10:11], v[91:92]
	v_fma_f64 v[24:25], v[40:41], s[6:7], -v[34:35]
	v_add_f64 v[22:23], v[22:23], v[0:1]
	s_mov_b32 s26, 0x66966769
	v_add_f64 v[14:15], v[89:90], v[28:29]
	v_fma_f64 v[28:29], v[61:62], s[18:19], v[93:94]
	s_mov_b32 s27, 0x3fefc445
	v_mul_f64 v[34:35], v[20:21], s[26:27]
	v_add_f64 v[4:5], v[12:13], v[4:5]
	v_fma_f64 v[12:13], v[65:66], s[16:17], v[30:31]
	v_add_f64 v[22:23], v[24:25], v[22:23]
	v_fma_f64 v[24:25], v[73:74], s[10:11], -v[32:33]
	s_mov_b32 s22, 0xebaa3ed8
	v_add_f64 v[14:15], v[28:29], v[14:15]
	v_mul_f64 v[28:29], v[59:60], s[26:27]
	s_mov_b32 s23, 0x3fbedb7d
	v_mul_f64 v[30:31], v[83:84], s[14:15]
	v_fma_f64 v[85:86], v[55:56], s[22:23], v[34:35]
	v_add_f64 v[12:13], v[12:13], v[4:5]
	v_fma_f64 v[18:19], v[63:64], s[18:19], v[18:19]
	v_add_f64 v[22:23], v[24:25], v[22:23]
	v_fma_f64 v[24:25], v[67:68], s[16:17], -v[26:27]
	v_fma_f64 v[32:33], v[57:58], s[22:23], -v[28:29]
	v_mul_f64 v[87:88], v[44:45], s[14:15]
	v_add_f64 v[4:5], v[8:9], v[16:17]
	v_fma_f64 v[16:17], v[38:39], s[10:11], -v[30:31]
	v_mul_f64 v[26:27], v[50:51], s[26:27]
	v_add_f64 v[8:9], v[85:86], v[14:15]
	v_add_f64 v[12:13], v[18:19], v[12:13]
	;; [unrolled: 1-line block ×3, first 2 shown]
	v_fma_f64 v[18:19], v[61:62], s[18:19], -v[93:94]
	v_add_f64 v[10:11], v[32:33], v[10:11]
	v_fma_f64 v[24:25], v[36:37], s[10:11], v[87:88]
	v_mul_f64 v[32:33], v[42:43], s[26:27]
	s_mov_b32 s29, 0xbfea55e2
	s_mov_b32 s28, s36
	v_add_f64 v[16:17], v[16:17], v[2:3]
	v_fma_f64 v[22:23], v[46:47], s[22:23], -v[26:27]
	v_mul_f64 v[85:86], v[81:82], s[28:29]
	v_add_f64 v[18:19], v[18:19], v[14:15]
	v_fma_f64 v[14:15], v[57:58], s[22:23], v[28:29]
	v_fma_f64 v[28:29], v[55:56], s[22:23], -v[34:35]
	v_add_f64 v[24:25], v[24:25], v[0:1]
	v_fma_f64 v[34:35], v[40:41], s[22:23], v[32:33]
	v_mul_f64 v[89:90], v[48:49], s[28:29]
	s_mov_b32 s39, 0x3fcea1e5
	s_mov_b32 s38, s4
	v_add_f64 v[16:17], v[22:23], v[16:17]
	v_fma_f64 v[22:23], v[75:76], s[16:17], -v[85:86]
	v_mul_f64 v[91:92], v[79:80], s[38:39]
	v_add_f64 v[14:15], v[14:15], v[12:13]
	v_add_f64 v[12:13], v[28:29], v[18:19]
	v_fma_f64 v[18:19], v[38:39], s[10:11], v[30:31]
	v_fma_f64 v[28:29], v[36:37], s[10:11], -v[87:88]
	v_add_f64 v[24:25], v[34:35], v[24:25]
	v_fma_f64 v[34:35], v[73:74], s[16:17], v[89:90]
	v_mul_f64 v[93:94], v[77:78], s[38:39]
	v_add_f64 v[16:17], v[22:23], v[16:17]
	v_fma_f64 v[22:23], v[65:66], s[0:1], -v[91:92]
	v_mul_f64 v[30:31], v[71:72], s[24:25]
	v_fma_f64 v[26:27], v[46:47], s[22:23], v[26:27]
	v_add_f64 v[18:19], v[18:19], v[2:3]
	v_fma_f64 v[32:33], v[40:41], s[22:23], -v[32:33]
	v_add_f64 v[28:29], v[28:29], v[0:1]
	v_add_f64 v[24:25], v[34:35], v[24:25]
	v_fma_f64 v[34:35], v[67:68], s[0:1], v[93:94]
	v_mul_f64 v[87:88], v[69:70], s[24:25]
	v_add_f64 v[16:17], v[22:23], v[16:17]
	v_fma_f64 v[22:23], v[63:64], s[6:7], -v[30:31]
	v_add_f64 v[18:19], v[26:27], v[18:19]
	v_fma_f64 v[26:27], v[75:76], s[16:17], v[85:86]
	v_add_f64 v[28:29], v[32:33], v[28:29]
	v_fma_f64 v[32:33], v[73:74], s[16:17], -v[89:90]
	v_mul_f64 v[85:86], v[83:84], s[20:21]
	v_add_f64 v[24:25], v[34:35], v[24:25]
	v_fma_f64 v[34:35], v[61:62], s[6:7], v[87:88]
	v_mul_f64 v[95:96], v[59:60], s[20:21]
	s_mov_b32 s35, 0x3fe5384d
	s_mov_b32 s34, s14
	v_add_f64 v[16:17], v[22:23], v[16:17]
	v_mul_f64 v[22:23], v[20:21], s[20:21]
	v_add_f64 v[18:19], v[26:27], v[18:19]
	v_fma_f64 v[26:27], v[65:66], s[0:1], v[91:92]
	v_add_f64 v[28:29], v[32:33], v[28:29]
	v_fma_f64 v[32:33], v[67:68], s[0:1], -v[93:94]
	v_fma_f64 v[91:92], v[38:39], s[18:19], -v[85:86]
	v_mul_f64 v[93:94], v[50:51], s[34:35]
	v_add_f64 v[24:25], v[34:35], v[24:25]
	v_fma_f64 v[34:35], v[57:58], s[18:19], -v[95:96]
	v_fma_f64 v[89:90], v[55:56], s[18:19], v[22:23]
	v_add_f64 v[26:27], v[26:27], v[18:19]
	v_fma_f64 v[30:31], v[63:64], s[6:7], v[30:31]
	v_add_f64 v[28:29], v[32:33], v[28:29]
	v_fma_f64 v[32:33], v[61:62], s[6:7], -v[87:88]
	v_add_f64 v[87:88], v[91:92], v[2:3]
	v_fma_f64 v[91:92], v[46:47], s[10:11], -v[93:94]
	v_mul_f64 v[97:98], v[81:82], s[24:25]
	v_add_f64 v[18:19], v[34:35], v[16:17]
	v_mul_f64 v[34:35], v[44:45], s[20:21]
	s_mov_b32 s31, 0xbfefc445
	s_mov_b32 s30, s26
	v_add_f64 v[16:17], v[89:90], v[24:25]
	v_add_f64 v[24:25], v[30:31], v[26:27]
	;; [unrolled: 1-line block ×3, first 2 shown]
	v_fma_f64 v[28:29], v[57:58], s[18:19], v[95:96]
	v_add_f64 v[87:88], v[91:92], v[87:88]
	v_fma_f64 v[89:90], v[75:76], s[6:7], -v[97:98]
	v_mul_f64 v[91:92], v[79:80], s[30:31]
	v_fma_f64 v[30:31], v[36:37], s[18:19], v[34:35]
	v_mul_f64 v[32:33], v[42:43], s[34:35]
	v_fma_f64 v[85:86], v[38:39], s[18:19], v[85:86]
	v_fma_f64 v[34:35], v[36:37], s[18:19], -v[34:35]
	v_add_f64 v[24:25], v[28:29], v[24:25]
	v_mul_f64 v[99:100], v[48:49], s[24:25]
	v_add_f64 v[28:29], v[89:90], v[87:88]
	v_fma_f64 v[87:88], v[65:66], s[22:23], -v[91:92]
	v_mul_f64 v[89:90], v[71:72], s[38:39]
	v_add_f64 v[30:31], v[30:31], v[0:1]
	v_fma_f64 v[95:96], v[40:41], s[10:11], v[32:33]
	v_fma_f64 v[22:23], v[55:56], s[18:19], -v[22:23]
	v_fma_f64 v[93:94], v[46:47], s[10:11], v[93:94]
	v_add_f64 v[85:86], v[85:86], v[2:3]
	v_fma_f64 v[32:33], v[40:41], s[10:11], -v[32:33]
	v_add_f64 v[34:35], v[34:35], v[0:1]
	v_add_f64 v[28:29], v[87:88], v[28:29]
	v_fma_f64 v[87:88], v[63:64], s[0:1], -v[89:90]
	v_add_f64 v[30:31], v[95:96], v[30:31]
	v_fma_f64 v[95:96], v[73:74], s[6:7], v[99:100]
	v_mul_f64 v[101:102], v[77:78], s[30:31]
	v_add_f64 v[22:23], v[22:23], v[26:27]
	v_add_f64 v[26:27], v[93:94], v[85:86]
	v_fma_f64 v[85:86], v[75:76], s[6:7], v[97:98]
	v_add_f64 v[32:33], v[32:33], v[34:35]
	v_fma_f64 v[34:35], v[73:74], s[6:7], -v[99:100]
	v_add_f64 v[28:29], v[87:88], v[28:29]
	v_mul_f64 v[87:88], v[83:84], s[30:31]
	v_add_f64 v[30:31], v[95:96], v[30:31]
	v_fma_f64 v[95:96], v[67:68], s[22:23], v[101:102]
	v_mul_f64 v[97:98], v[50:51], s[4:5]
	v_add_f64 v[26:27], v[85:86], v[26:27]
	v_fma_f64 v[85:86], v[65:66], s[22:23], v[91:92]
	v_add_f64 v[32:33], v[34:35], v[32:33]
	v_fma_f64 v[34:35], v[67:68], s[22:23], -v[101:102]
	v_fma_f64 v[91:92], v[38:39], s[22:23], -v[87:88]
	v_mul_f64 v[103:104], v[20:21], s[36:37]
	v_add_f64 v[30:31], v[95:96], v[30:31]
	v_mul_f64 v[95:96], v[59:60], s[36:37]
	s_mov_b32 s37, 0x3fedeba7
	s_mov_b32 s36, s20
	v_mul_f64 v[93:94], v[69:70], s[38:39]
	v_add_f64 v[26:27], v[85:86], v[26:27]
	v_fma_f64 v[85:86], v[63:64], s[0:1], v[89:90]
	v_add_f64 v[32:33], v[34:35], v[32:33]
	v_add_f64 v[34:35], v[91:92], v[2:3]
	v_fma_f64 v[89:90], v[46:47], s[0:1], -v[97:98]
	v_mul_f64 v[91:92], v[81:82], s[36:37]
	v_mul_f64 v[105:106], v[44:45], s[30:31]
	v_fma_f64 v[99:100], v[61:62], s[0:1], v[93:94]
	v_fma_f64 v[93:94], v[61:62], s[0:1], -v[93:94]
	v_add_f64 v[85:86], v[85:86], v[26:27]
	v_fma_f64 v[87:88], v[38:39], s[22:23], v[87:88]
	v_fma_f64 v[101:102], v[57:58], s[16:17], -v[95:96]
	v_add_f64 v[26:27], v[89:90], v[34:35]
	v_fma_f64 v[34:35], v[75:76], s[18:19], -v[91:92]
	v_mul_f64 v[107:108], v[48:49], s[36:37]
	v_fma_f64 v[97:98], v[46:47], s[0:1], v[97:98]
	v_add_f64 v[89:90], v[93:94], v[32:33]
	v_fma_f64 v[32:33], v[36:37], s[22:23], v[105:106]
	v_mul_f64 v[93:94], v[42:43], s[4:5]
	v_add_f64 v[87:88], v[87:88], v[2:3]
	v_add_f64 v[28:29], v[101:102], v[28:29]
	;; [unrolled: 1-line block ×3, first 2 shown]
	v_fma_f64 v[34:35], v[36:37], s[22:23], -v[105:106]
	v_mul_f64 v[101:102], v[79:80], s[24:25]
	v_mul_f64 v[113:114], v[77:78], s[24:25]
	v_add_f64 v[32:33], v[32:33], v[0:1]
	v_fma_f64 v[105:106], v[40:41], s[0:1], v[93:94]
	v_fma_f64 v[93:94], v[40:41], s[0:1], -v[93:94]
	v_add_f64 v[87:88], v[97:98], v[87:88]
	v_fma_f64 v[91:92], v[75:76], s[18:19], v[91:92]
	v_add_f64 v[34:35], v[34:35], v[0:1]
	v_fma_f64 v[109:110], v[65:66], s[6:7], -v[101:102]
	v_mul_f64 v[111:112], v[71:72], s[28:29]
	v_add_f64 v[30:31], v[99:100], v[30:31]
	v_add_f64 v[32:33], v[105:106], v[32:33]
	v_fma_f64 v[105:106], v[73:74], s[18:19], v[107:108]
	v_fma_f64 v[99:100], v[55:56], s[16:17], v[103:104]
	v_add_f64 v[87:88], v[91:92], v[87:88]
	v_add_f64 v[34:35], v[93:94], v[34:35]
	v_fma_f64 v[93:94], v[73:74], s[18:19], -v[107:108]
	v_mul_f64 v[107:108], v[69:70], s[28:29]
	v_fma_f64 v[91:92], v[65:66], s[6:7], v[101:102]
	v_add_f64 v[26:27], v[109:110], v[26:27]
	v_add_f64 v[32:33], v[105:106], v[32:33]
	v_fma_f64 v[105:106], v[67:68], s[6:7], v[113:114]
	v_fma_f64 v[97:98], v[63:64], s[16:17], -v[111:112]
	v_mul_f64 v[109:110], v[59:60], s[14:15]
	v_add_f64 v[34:35], v[93:94], v[34:35]
	v_fma_f64 v[93:94], v[67:68], s[6:7], -v[113:114]
	v_fma_f64 v[95:96], v[57:58], s[16:17], v[95:96]
	v_fma_f64 v[103:104], v[55:56], s[16:17], -v[103:104]
	v_mul_f64 v[115:116], v[20:21], s[14:15]
	v_add_f64 v[101:102], v[105:106], v[32:33]
	v_fma_f64 v[105:106], v[61:62], s[16:17], v[107:108]
	v_add_f64 v[87:88], v[91:92], v[87:88]
	v_fma_f64 v[91:92], v[63:64], s[16:17], v[111:112]
	v_add_f64 v[34:35], v[93:94], v[34:35]
	v_fma_f64 v[93:94], v[61:62], s[16:17], -v[107:108]
	v_add_f64 v[97:98], v[97:98], v[26:27]
	v_fma_f64 v[113:114], v[57:58], s[10:11], -v[109:110]
	v_add_f64 v[26:27], v[99:100], v[30:31]
	v_add_f64 v[32:33], v[95:96], v[85:86]
	;; [unrolled: 1-line block ×4, first 2 shown]
	v_fma_f64 v[95:96], v[55:56], s[10:11], v[115:116]
	v_add_f64 v[87:88], v[91:92], v[87:88]
	v_add_f64 v[34:35], v[93:94], v[34:35]
	v_fma_f64 v[91:92], v[57:58], s[10:11], v[109:110]
	v_fma_f64 v[93:94], v[55:56], s[10:11], -v[115:116]
	v_mul_f64 v[99:100], v[83:84], s[28:29]
	v_mul_f64 v[105:106], v[44:45], s[28:29]
	v_add_f64 v[85:86], v[113:114], v[97:98]
	v_mul_f64 v[97:98], v[59:60], s[24:25]
	v_mul_f64 v[101:102], v[20:21], s[24:25]
	s_mov_b32 s25, 0xbfddbe06
	v_mul_f64 v[103:104], v[83:84], s[24:25]
	v_add_f64 v[83:84], v[95:96], v[89:90]
	v_add_f64 v[89:90], v[91:92], v[87:88]
	;; [unrolled: 1-line block ×3, first 2 shown]
	v_fma_f64 v[34:35], v[38:39], s[16:17], -v[99:100]
	v_fma_f64 v[91:92], v[38:39], s[16:17], v[99:100]
	v_mul_f64 v[93:94], v[50:51], s[20:21]
	v_fma_f64 v[99:100], v[36:37], s[16:17], v[105:106]
	v_mul_f64 v[107:108], v[42:43], s[20:21]
	v_fma_f64 v[95:96], v[38:39], s[6:7], -v[103:104]
	v_fma_f64 v[38:39], v[38:39], s[6:7], v[103:104]
	v_mul_f64 v[44:45], v[44:45], s[24:25]
	v_fma_f64 v[103:104], v[36:37], s[16:17], -v[105:106]
	v_add_f64 v[34:35], v[34:35], v[2:3]
	v_fma_f64 v[105:106], v[46:47], s[18:19], -v[93:94]
	v_mul_f64 v[109:110], v[81:82], s[4:5]
	v_add_f64 v[99:100], v[99:100], v[0:1]
	v_fma_f64 v[111:112], v[40:41], s[18:19], v[107:108]
	v_mul_f64 v[113:114], v[48:49], s[4:5]
	v_fma_f64 v[115:116], v[36:37], s[6:7], v[44:45]
	v_fma_f64 v[36:37], v[36:37], s[6:7], -v[44:45]
	v_add_f64 v[44:45], v[91:92], v[2:3]
	v_add_f64 v[34:35], v[105:106], v[34:35]
	v_fma_f64 v[91:92], v[75:76], s[0:1], -v[109:110]
	v_mul_f64 v[105:106], v[79:80], s[34:35]
	v_add_f64 v[99:100], v[111:112], v[99:100]
	v_fma_f64 v[111:112], v[73:74], s[0:1], v[113:114]
	v_mul_f64 v[117:118], v[77:78], s[34:35]
	v_mul_f64 v[119:120], v[71:72], s[26:27]
	;; [unrolled: 1-line block ×3, first 2 shown]
	v_add_f64 v[95:96], v[95:96], v[2:3]
	v_add_f64 v[34:35], v[91:92], v[34:35]
	v_fma_f64 v[91:92], v[65:66], s[10:11], -v[105:106]
	v_add_f64 v[2:3], v[38:39], v[2:3]
	v_add_f64 v[99:100], v[111:112], v[99:100]
	v_fma_f64 v[111:112], v[67:68], s[10:11], v[117:118]
	v_fma_f64 v[38:39], v[46:47], s[18:19], v[93:94]
	v_mul_f64 v[50:51], v[50:51], s[28:29]
	v_mul_f64 v[42:43], v[42:43], s[28:29]
	v_add_f64 v[103:104], v[103:104], v[0:1]
	v_add_f64 v[34:35], v[91:92], v[34:35]
	v_fma_f64 v[91:92], v[63:64], s[22:23], -v[119:120]
	v_add_f64 v[115:116], v[115:116], v[0:1]
	v_add_f64 v[93:94], v[111:112], v[99:100]
	v_fma_f64 v[99:100], v[61:62], s[22:23], v[121:122]
	v_add_f64 v[0:1], v[36:37], v[0:1]
	v_fma_f64 v[36:37], v[40:41], s[18:19], -v[107:108]
	v_add_f64 v[38:39], v[38:39], v[44:45]
	v_fma_f64 v[44:45], v[75:76], s[0:1], v[109:110]
	v_add_f64 v[34:35], v[91:92], v[34:35]
	v_mul_f64 v[81:82], v[81:82], s[30:31]
	v_mul_f64 v[48:49], v[48:49], s[30:31]
	v_add_f64 v[91:92], v[99:100], v[93:94]
	v_fma_f64 v[93:94], v[46:47], s[16:17], v[50:51]
	v_fma_f64 v[99:100], v[40:41], s[16:17], -v[42:43]
	v_add_f64 v[36:37], v[36:37], v[103:104]
	v_fma_f64 v[103:104], v[73:74], s[0:1], -v[113:114]
	v_add_f64 v[38:39], v[44:45], v[38:39]
	v_fma_f64 v[44:45], v[65:66], s[10:11], v[105:106]
	v_mul_f64 v[79:80], v[79:80], s[20:21]
	v_mul_f64 v[77:78], v[77:78], s[20:21]
	v_add_f64 v[2:3], v[93:94], v[2:3]
	v_fma_f64 v[93:94], v[75:76], s[22:23], v[81:82]
	v_add_f64 v[0:1], v[99:100], v[0:1]
	v_fma_f64 v[99:100], v[73:74], s[22:23], -v[48:49]
	v_fma_f64 v[46:47], v[46:47], s[16:17], -v[50:51]
	v_add_f64 v[36:37], v[103:104], v[36:37]
	v_fma_f64 v[103:104], v[67:68], s[10:11], -v[117:118]
	v_fma_f64 v[40:41], v[40:41], s[16:17], v[42:43]
	v_add_f64 v[38:39], v[44:45], v[38:39]
	v_fma_f64 v[44:45], v[63:64], s[22:23], v[119:120]
	v_add_f64 v[2:3], v[93:94], v[2:3]
	v_fma_f64 v[93:94], v[65:66], s[18:19], v[79:80]
	v_mul_f64 v[50:51], v[71:72], s[14:15]
	v_add_f64 v[0:1], v[99:100], v[0:1]
	v_fma_f64 v[42:43], v[67:68], s[18:19], -v[77:78]
	v_mul_f64 v[69:70], v[69:70], s[14:15]
	v_fma_f64 v[71:72], v[75:76], s[22:23], -v[81:82]
	v_add_f64 v[46:47], v[46:47], v[95:96]
	v_add_f64 v[36:37], v[103:104], v[36:37]
	v_fma_f64 v[103:104], v[61:62], s[22:23], -v[121:122]
	v_fma_f64 v[48:49], v[73:74], s[22:23], v[48:49]
	v_add_f64 v[40:41], v[40:41], v[115:116]
	v_add_f64 v[2:3], v[93:94], v[2:3]
	v_fma_f64 v[75:76], v[63:64], s[10:11], v[50:51]
	v_add_f64 v[0:1], v[42:43], v[0:1]
	v_fma_f64 v[42:43], v[61:62], s[10:11], -v[69:70]
	v_add_f64 v[38:39], v[44:45], v[38:39]
	v_fma_f64 v[44:45], v[65:66], s[18:19], -v[79:80]
	v_add_f64 v[46:47], v[71:72], v[46:47]
	v_add_f64 v[65:66], v[103:104], v[36:37]
	v_fma_f64 v[36:37], v[67:68], s[18:19], v[77:78]
	v_add_f64 v[40:41], v[48:49], v[40:41]
	v_add_f64 v[48:49], v[75:76], v[2:3]
	;; [unrolled: 1-line block ×3, first 2 shown]
	v_mul_f64 v[2:3], v[59:60], s[4:5]
	v_fma_f64 v[42:43], v[63:64], s[10:11], -v[50:51]
	v_add_f64 v[44:45], v[44:45], v[46:47]
	v_mul_f64 v[20:21], v[20:21], s[4:5]
	v_fma_f64 v[46:47], v[61:62], s[10:11], v[69:70]
	v_add_f64 v[36:37], v[36:37], v[40:41]
	v_fma_f64 v[40:41], v[57:58], s[6:7], -v[97:98]
	v_fma_f64 v[50:51], v[57:58], s[6:7], v[97:98]
	v_fma_f64 v[59:60], v[57:58], s[0:1], v[2:3]
	v_fma_f64 v[61:62], v[55:56], s[6:7], -v[101:102]
	v_add_f64 v[42:43], v[42:43], v[44:45]
	v_fma_f64 v[44:45], v[55:56], s[0:1], -v[20:21]
	v_fma_f64 v[57:58], v[57:58], s[0:1], -v[2:3]
	v_fma_f64 v[20:21], v[55:56], s[0:1], v[20:21]
	v_add_f64 v[46:47], v[46:47], v[36:37]
	v_fma_f64 v[63:64], v[55:56], s[6:7], v[101:102]
	v_add_f64 v[2:3], v[40:41], v[34:35]
	v_add_f64 v[36:37], v[50:51], v[38:39]
	;; [unrolled: 1-line block ×5, first 2 shown]
	s_movk_i32 s0, 0xd0
	v_add_f64 v[44:45], v[57:58], v[42:43]
	v_add_f64 v[42:43], v[20:21], v[46:47]
	v_mad_u32_u24 v20, v54, s0, 0
	v_add_f64 v[0:1], v[63:64], v[91:92]
	ds_write_b128 v20, v[4:7]
	ds_write_b128 v20, v[38:41] offset:16
	ds_write_b128 v20, v[34:37] offset:32
	;; [unrolled: 1-line block ×12, first 2 shown]
.LBB0_13:
	s_or_b64 exec, exec, s[2:3]
	s_movk_i32 s0, 0x4f
	s_waitcnt vmcnt(12)
	v_mul_lo_u16_sdwa v0, v54, s0 dst_sel:DWORD dst_unused:UNUSED_PAD src0_sel:BYTE_0 src1_sel:DWORD
	s_waitcnt vmcnt(0)
	v_add_u16_e32 v9, 52, v54
	v_lshrrev_b16_e32 v51, 10, v0
	v_mul_lo_u16_sdwa v10, v9, s0 dst_sel:DWORD dst_unused:UNUSED_PAD src0_sel:BYTE_0 src1_sel:DWORD
	v_mul_lo_u16_e32 v0, 13, v51
	v_lshrrev_b16_e32 v106, 10, v10
	v_sub_u16_e32 v105, v54, v0
	v_mov_b32_e32 v0, 3
	v_mul_lo_u16_e32 v10, 13, v106
	v_mul_u32_u24_sdwa v1, v105, v0 dst_sel:DWORD dst_unused:UNUSED_PAD src0_sel:BYTE_0 src1_sel:DWORD
	v_sub_u16_e32 v107, v9, v10
	v_lshlrev_b32_e32 v25, 4, v1
	v_mul_u32_u24_sdwa v9, v107, v0 dst_sel:DWORD dst_unused:UNUSED_PAD src0_sel:BYTE_0 src1_sel:DWORD
	s_waitcnt lgkmcnt(0)
	; wave barrier
	s_waitcnt lgkmcnt(0)
	global_load_dwordx4 v[1:4], v25, s[8:9] offset:16
	global_load_dwordx4 v[5:8], v25, s[8:9]
	v_lshlrev_b32_e32 v26, 4, v9
	global_load_dwordx4 v[9:12], v26, s[8:9] offset:32
	global_load_dwordx4 v[13:16], v26, s[8:9] offset:16
	;; [unrolled: 1-line block ×3, first 2 shown]
	global_load_dwordx4 v[21:24], v26, s[8:9]
	v_add_u16_e32 v25, 0x68, v54
	v_mul_lo_u16_sdwa v26, v25, s0 dst_sel:DWORD dst_unused:UNUSED_PAD src0_sel:BYTE_0 src1_sel:DWORD
	v_lshrrev_b16_e32 v108, 10, v26
	v_mul_lo_u16_e32 v26, 13, v108
	v_sub_u16_e32 v109, v25, v26
	v_mul_u32_u24_sdwa v0, v109, v0 dst_sel:DWORD dst_unused:UNUSED_PAD src0_sel:BYTE_0 src1_sel:DWORD
	v_lshlrev_b32_e32 v0, 4, v0
	global_load_dwordx4 v[25:28], v0, s[8:9]
	global_load_dwordx4 v[29:32], v0, s[8:9] offset:16
	global_load_dwordx4 v[33:36], v0, s[8:9] offset:32
	v_lshl_add_u32 v0, v54, 4, 0
	ds_read_b128 v[37:40], v0
	ds_read_b128 v[41:44], v0 offset:832
	ds_read_b128 v[45:48], v0 offset:4992
	ds_read_b128 v[55:58], v0 offset:5824
	ds_read_b128 v[59:62], v0 offset:2496
	ds_read_b128 v[63:66], v0 offset:1664
	ds_read_b128 v[67:70], v0 offset:3328
	ds_read_b128 v[71:74], v0 offset:4160
	ds_read_b128 v[75:78], v0 offset:7488
	ds_read_b128 v[79:82], v0 offset:6656
	ds_read_b128 v[83:86], v0 offset:8320
	ds_read_b128 v[87:90], v0 offset:9152
	s_waitcnt lgkmcnt(0)
	; wave barrier
	s_waitcnt lgkmcnt(0)
	s_mov_b32 s0, 0xe8584caa
	s_mov_b32 s1, 0x3febb67a
	;; [unrolled: 1-line block ×4, first 2 shown]
	s_waitcnt vmcnt(6)
	v_mul_f64 v[99:100], v[85:86], v[11:12]
	v_mul_f64 v[49:50], v[61:62], v[7:8]
	;; [unrolled: 1-line block ×5, first 2 shown]
	s_waitcnt vmcnt(4)
	v_mul_f64 v[93:94], v[77:78], v[19:20]
	v_mul_f64 v[19:20], v[75:76], v[19:20]
	s_waitcnt vmcnt(3)
	v_mul_f64 v[95:96], v[69:70], v[23:24]
	v_mul_f64 v[23:24], v[67:68], v[23:24]
	v_mul_f64 v[97:98], v[57:58], v[15:16]
	v_mul_f64 v[15:16], v[55:56], v[15:16]
	v_mul_f64 v[11:12], v[83:84], v[11:12]
	s_waitcnt vmcnt(2)
	v_mul_f64 v[101:102], v[73:74], v[27:28]
	v_mul_f64 v[27:28], v[71:72], v[27:28]
	s_waitcnt vmcnt(1)
	v_mul_f64 v[103:104], v[81:82], v[31:32]
	v_fma_f64 v[49:50], v[59:60], v[5:6], -v[49:50]
	v_fma_f64 v[5:6], v[61:62], v[5:6], v[7:8]
	v_mul_f64 v[7:8], v[79:80], v[31:32]
	s_waitcnt vmcnt(0)
	v_mul_f64 v[31:32], v[89:90], v[35:36]
	v_mul_f64 v[35:36], v[87:88], v[35:36]
	v_fma_f64 v[45:46], v[45:46], v[1:2], -v[91:92]
	v_fma_f64 v[1:2], v[47:48], v[1:2], v[3:4]
	v_fma_f64 v[3:4], v[75:76], v[17:18], -v[93:94]
	v_fma_f64 v[17:18], v[77:78], v[17:18], v[19:20]
	v_fma_f64 v[19:20], v[67:68], v[21:22], -v[95:96]
	v_fma_f64 v[21:22], v[69:70], v[21:22], v[23:24]
	v_fma_f64 v[23:24], v[55:56], v[13:14], -v[97:98]
	v_fma_f64 v[13:14], v[57:58], v[13:14], v[15:16]
	v_fma_f64 v[15:16], v[83:84], v[9:10], -v[99:100]
	v_fma_f64 v[9:10], v[85:86], v[9:10], v[11:12]
	v_fma_f64 v[11:12], v[71:72], v[25:26], -v[101:102]
	v_fma_f64 v[25:26], v[73:74], v[25:26], v[27:28]
	v_fma_f64 v[27:28], v[79:80], v[29:30], -v[103:104]
	v_fma_f64 v[7:8], v[81:82], v[29:30], v[7:8]
	v_fma_f64 v[29:30], v[87:88], v[33:34], -v[31:32]
	v_fma_f64 v[31:32], v[89:90], v[33:34], v[35:36]
	v_add_f64 v[33:34], v[37:38], -v[45:46]
	v_add_f64 v[35:36], v[39:40], -v[1:2]
	;; [unrolled: 1-line block ×12, first 2 shown]
	v_fma_f64 v[37:38], v[37:38], 2.0, -v[33:34]
	v_fma_f64 v[39:40], v[39:40], 2.0, -v[35:36]
	;; [unrolled: 1-line block ×12, first 2 shown]
	v_add_f64 v[1:2], v[33:34], -v[1:2]
	v_add_f64 v[3:4], v[35:36], v[3:4]
	v_add_f64 v[7:8], v[47:48], v[13:14]
	;; [unrolled: 1-line block ×3, first 2 shown]
	v_add_f64 v[13:14], v[37:38], -v[23:24]
	v_add_f64 v[15:16], v[39:40], -v[27:28]
	;; [unrolled: 1-line block ×8, first 2 shown]
	v_fma_f64 v[17:18], v[33:34], 2.0, -v[1:2]
	v_fma_f64 v[19:20], v[35:36], 2.0, -v[3:4]
	v_fma_f64 v[33:34], v[37:38], 2.0, -v[13:14]
	v_fma_f64 v[35:36], v[39:40], 2.0, -v[15:16]
	v_fma_f64 v[37:38], v[41:42], 2.0, -v[21:22]
	v_fma_f64 v[39:40], v[43:44], 2.0, -v[23:24]
	v_fma_f64 v[29:30], v[45:46], 2.0, -v[5:6]
	v_fma_f64 v[31:32], v[47:48], 2.0, -v[7:8]
	v_fma_f64 v[41:42], v[49:50], 2.0, -v[25:26]
	v_fma_f64 v[43:44], v[59:60], 2.0, -v[27:28]
	v_fma_f64 v[45:46], v[55:56], 2.0, -v[9:10]
	v_fma_f64 v[47:48], v[57:58], 2.0, -v[11:12]
	v_mov_b32_e32 v50, 4
	v_mul_u32_u24_e32 v49, 0x340, v51
	v_lshlrev_b32_sdwa v51, v50, v105 dst_sel:DWORD dst_unused:UNUSED_PAD src0_sel:DWORD src1_sel:BYTE_0
	v_add3_u32 v49, 0, v49, v51
	ds_write_b128 v49, v[33:36]
	ds_write_b128 v49, v[17:20] offset:208
	ds_write_b128 v49, v[13:16] offset:416
	ds_write_b128 v49, v[1:4] offset:624
	v_mul_u32_u24_e32 v1, 0x340, v106
	v_lshlrev_b32_sdwa v2, v50, v107 dst_sel:DWORD dst_unused:UNUSED_PAD src0_sel:DWORD src1_sel:BYTE_0
	v_add3_u32 v1, 0, v1, v2
	ds_write_b128 v1, v[37:40]
	ds_write_b128 v1, v[29:32] offset:208
	ds_write_b128 v1, v[21:24] offset:416
	ds_write_b128 v1, v[5:8] offset:624
	;; [unrolled: 7-line block ×3, first 2 shown]
	v_mul_u32_u24_e32 v1, 5, v54
	v_lshlrev_b32_e32 v21, 4, v1
	s_waitcnt lgkmcnt(0)
	; wave barrier
	s_waitcnt lgkmcnt(0)
	global_load_dwordx4 v[1:4], v21, s[8:9] offset:624
	global_load_dwordx4 v[5:8], v21, s[8:9] offset:640
	;; [unrolled: 1-line block ×5, first 2 shown]
	ds_read_b128 v[21:24], v0
	ds_read_b128 v[25:28], v0 offset:832
	ds_read_b128 v[29:32], v0 offset:1664
	;; [unrolled: 1-line block ×11, first 2 shown]
	s_waitcnt lgkmcnt(0)
	; wave barrier
	s_waitcnt vmcnt(4) lgkmcnt(0)
	v_mul_f64 v[49:50], v[31:32], v[3:4]
	v_mul_f64 v[75:76], v[29:30], v[3:4]
	s_waitcnt vmcnt(2)
	v_mul_f64 v[81:82], v[47:48], v[11:12]
	v_mul_f64 v[83:84], v[45:46], v[11:12]
	s_waitcnt vmcnt(1)
	;; [unrolled: 3-line block ×3, first 2 shown]
	v_mul_f64 v[89:90], v[69:70], v[19:20]
	v_mul_f64 v[91:92], v[67:68], v[19:20]
	;; [unrolled: 1-line block ×8, first 2 shown]
	v_fma_f64 v[29:30], v[29:30], v[1:2], -v[49:50]
	v_fma_f64 v[45:46], v[45:46], v[9:10], -v[81:82]
	v_fma_f64 v[47:48], v[47:48], v[9:10], v[83:84]
	v_fma_f64 v[49:50], v[59:60], v[13:14], -v[85:86]
	v_fma_f64 v[59:60], v[61:62], v[13:14], v[87:88]
	;; [unrolled: 2-line block ×3, first 2 shown]
	v_mul_f64 v[93:94], v[35:36], v[3:4]
	v_mul_f64 v[3:4], v[33:34], v[3:4]
	v_mul_f64 v[97:98], v[57:58], v[11:12]
	v_mul_f64 v[11:12], v[55:56], v[11:12]
	v_fma_f64 v[31:32], v[31:32], v[1:2], v[75:76]
	v_fma_f64 v[37:38], v[37:38], v[5:6], -v[77:78]
	v_fma_f64 v[39:40], v[39:40], v[5:6], v[79:80]
	v_fma_f64 v[65:66], v[65:66], v[13:14], v[15:16]
	v_fma_f64 v[69:70], v[71:72], v[17:18], -v[101:102]
	v_fma_f64 v[19:20], v[73:74], v[17:18], v[19:20]
	v_add_f64 v[15:16], v[47:48], v[67:68]
	v_add_f64 v[17:18], v[45:46], v[61:62]
	v_mul_f64 v[95:96], v[43:44], v[7:8]
	v_mul_f64 v[7:8], v[41:42], v[7:8]
	v_fma_f64 v[33:34], v[33:34], v[1:2], -v[93:94]
	v_fma_f64 v[35:36], v[35:36], v[1:2], v[3:4]
	v_fma_f64 v[55:56], v[55:56], v[9:10], -v[97:98]
	v_fma_f64 v[57:58], v[57:58], v[9:10], v[11:12]
	v_fma_f64 v[63:64], v[63:64], v[13:14], -v[99:100]
	v_add_f64 v[1:2], v[21:22], v[37:38]
	v_add_f64 v[3:4], v[37:38], v[49:50]
	;; [unrolled: 1-line block ×3, first 2 shown]
	v_add_f64 v[11:12], v[37:38], -v[49:50]
	v_add_f64 v[13:14], v[29:30], v[45:46]
	v_add_f64 v[37:38], v[47:48], -v[67:68]
	v_add_f64 v[45:46], v[45:46], -v[61:62]
	v_fma_f64 v[15:16], v[15:16], -0.5, v[31:32]
	v_fma_f64 v[17:18], v[17:18], -0.5, v[29:30]
	v_fma_f64 v[41:42], v[41:42], v[5:6], -v[95:96]
	v_fma_f64 v[43:44], v[43:44], v[5:6], v[7:8]
	v_add_f64 v[5:6], v[39:40], -v[59:60]
	v_add_f64 v[7:8], v[23:24], v[39:40]
	v_add_f64 v[39:40], v[31:32], v[47:48]
	;; [unrolled: 1-line block ×3, first 2 shown]
	v_fma_f64 v[1:2], v[3:4], -0.5, v[21:22]
	v_fma_f64 v[3:4], v[9:10], -0.5, v[23:24]
	v_fma_f64 v[9:10], v[45:46], s[2:3], v[15:16]
	v_fma_f64 v[21:22], v[37:38], s[2:3], v[17:18]
	;; [unrolled: 1-line block ×4, first 2 shown]
	v_add_f64 v[23:24], v[39:40], v[67:68]
	v_add_f64 v[71:72], v[41:42], v[63:64]
	;; [unrolled: 1-line block ×4, first 2 shown]
	v_mul_f64 v[37:38], v[9:10], s[0:1]
	v_mul_f64 v[39:40], v[21:22], -0.5
	v_add_f64 v[7:8], v[7:8], v[59:60]
	v_add_f64 v[13:14], v[13:14], v[61:62]
	v_mul_f64 v[45:46], v[17:18], s[2:3]
	v_mul_f64 v[59:60], v[15:16], -0.5
	v_fma_f64 v[67:68], v[5:6], s[2:3], v[1:2]
	v_add_f64 v[47:48], v[25:26], v[41:42]
	v_fma_f64 v[17:18], v[17:18], 0.5, v[37:38]
	v_fma_f64 v[37:38], v[15:16], s[0:1], v[39:40]
	v_add_f64 v[73:74], v[43:44], -v[65:66]
	v_fma_f64 v[25:26], v[71:72], -0.5, v[25:26]
	v_fma_f64 v[29:30], v[29:30], -0.5, v[33:34]
	v_fma_f64 v[61:62], v[5:6], s[0:1], v[1:2]
	v_fma_f64 v[39:40], v[9:10], 0.5, v[45:46]
	v_fma_f64 v[45:46], v[21:22], s[2:3], v[59:60]
	v_fma_f64 v[31:32], v[31:32], -0.5, v[35:36]
	v_add_f64 v[1:2], v[49:50], v[13:14]
	v_add_f64 v[5:6], v[49:50], -v[13:14]
	v_add_f64 v[13:14], v[67:68], v[37:38]
	v_add_f64 v[21:22], v[67:68], -v[37:38]
	v_add_f64 v[37:38], v[55:56], -v[69:70]
	;; [unrolled: 1-line block ×3, first 2 shown]
	v_fma_f64 v[71:72], v[11:12], s[2:3], v[3:4]
	v_fma_f64 v[75:76], v[11:12], s[0:1], v[3:4]
	v_add_f64 v[3:4], v[7:8], v[23:24]
	v_add_f64 v[59:60], v[43:44], v[65:66]
	v_add_f64 v[7:8], v[7:8], -v[23:24]
	v_add_f64 v[23:24], v[27:28], v[43:44]
	v_add_f64 v[9:10], v[61:62], v[17:18]
	v_add_f64 v[17:18], v[61:62], -v[17:18]
	v_fma_f64 v[61:62], v[73:74], s[0:1], v[25:26]
	v_fma_f64 v[43:44], v[73:74], s[2:3], v[25:26]
	;; [unrolled: 1-line block ×6, first 2 shown]
	v_fma_f64 v[27:28], v[59:60], -0.5, v[27:28]
	v_add_f64 v[37:38], v[41:42], -v[63:64]
	v_add_f64 v[49:50], v[23:24], v[65:66]
	v_add_f64 v[23:24], v[33:34], v[55:56]
	;; [unrolled: 1-line block ×3, first 2 shown]
	v_mul_f64 v[33:34], v[25:26], s[0:1]
	v_mul_f64 v[55:56], v[29:30], s[2:3]
	v_mul_f64 v[41:42], v[67:68], -0.5
	v_mul_f64 v[57:58], v[31:32], -0.5
	v_add_f64 v[47:48], v[47:48], v[63:64]
	v_fma_f64 v[59:60], v[37:38], s[2:3], v[27:28]
	v_fma_f64 v[63:64], v[37:38], s[0:1], v[27:28]
	v_add_f64 v[37:38], v[23:24], v[69:70]
	v_add_f64 v[73:74], v[35:36], v[19:20]
	v_fma_f64 v[65:66], v[29:30], 0.5, v[33:34]
	v_fma_f64 v[55:56], v[25:26], 0.5, v[55:56]
	v_fma_f64 v[69:70], v[31:32], s[0:1], v[41:42]
	v_fma_f64 v[57:58], v[67:68], s[2:3], v[57:58]
	v_add_f64 v[11:12], v[71:72], v[39:40]
	v_add_f64 v[15:16], v[75:76], v[45:46]
	v_add_f64 v[19:20], v[71:72], -v[39:40]
	v_add_f64 v[23:24], v[75:76], -v[45:46]
	v_add_f64 v[25:26], v[47:48], v[37:38]
	v_add_f64 v[27:28], v[49:50], v[73:74]
	;; [unrolled: 1-line block ×6, first 2 shown]
	v_add_f64 v[37:38], v[47:48], -v[37:38]
	v_add_f64 v[41:42], v[61:62], -v[65:66]
	;; [unrolled: 1-line block ×6, first 2 shown]
	ds_write_b128 v0, v[1:4]
	ds_write_b128 v0, v[9:12] offset:832
	ds_write_b128 v0, v[13:16] offset:1664
	;; [unrolled: 1-line block ×11, first 2 shown]
	s_waitcnt lgkmcnt(0)
	; wave barrier
	s_waitcnt lgkmcnt(0)
	s_and_saveexec_b64 s[0:1], vcc
	s_cbranch_execz .LBB0_15
; %bb.14:
	v_add_u32_e32 v79, 0x104, v54
	v_mov_b32_e32 v80, 0
	v_lshlrev_b64 v[1:2], 4, v[79:80]
	v_mov_b32_e32 v5, s9
	v_add_co_u32_e32 v1, vcc, s8, v1
	v_addc_co_u32_e32 v2, vcc, v5, v2, vcc
	v_mov_b32_e32 v55, v80
	v_add_co_u32_e32 v1, vcc, 0x1000, v1
	v_lshlrev_b64 v[49:50], 4, v[54:55]
	v_addc_co_u32_e32 v2, vcc, 0, v2, vcc
	v_add_co_u32_e32 v6, vcc, s8, v49
	s_movk_i32 s0, 0x1000
	v_addc_co_u32_e32 v5, vcc, v5, v50, vcc
	v_add_co_u32_e32 v25, vcc, s0, v6
	v_addc_co_u32_e32 v26, vcc, 0, v5, vcc
	global_load_dwordx4 v[1:4], v[1:2], off offset:688
	s_nop 0
	global_load_dwordx4 v[5:8], v[25:26], off offset:4016
	global_load_dwordx4 v[9:12], v[25:26], off offset:3184
	;; [unrolled: 1-line block ×5, first 2 shown]
	ds_read_b128 v[25:28], v0 offset:4160
	ds_read_b128 v[29:32], v0 offset:3328
	;; [unrolled: 1-line block ×9, first 2 shown]
	ds_read_b128 v[67:70], v0
	ds_read_b128 v[71:74], v0 offset:5824
	ds_read_b128 v[75:78], v0 offset:4992
	v_mov_b32_e32 v0, s13
	v_add_co_u32_e32 v93, vcc, s12, v52
	v_addc_co_u32_e32 v94, vcc, v0, v53, vcc
	v_add_u32_e32 v51, 0xd0, v54
	v_add_co_u32_e32 v83, vcc, v93, v49
	v_lshrrev_b32_e32 v0, 3, v51
	v_addc_co_u32_e32 v84, vcc, v94, v50, vcc
	s_mov_b32 s1, 0x1a41a41b
	v_mul_hi_u32 v0, v0, s1
	v_add_co_u32_e32 v85, vcc, s0, v83
	v_mov_b32_e32 v82, v80
	v_lshrrev_b32_e32 v0, 2, v0
	v_mul_u32_u24_e32 v81, 0x138, v0
	v_addc_co_u32_e32 v86, vcc, 0, v84, vcc
	s_movk_i32 s0, 0x2000
	s_movk_i32 s2, 0x138
	s_waitcnt vmcnt(4) lgkmcnt(8)
	v_mul_f64 v[51:52], v[5:6], v[39:40]
	v_mul_f64 v[39:40], v[7:8], v[39:40]
	s_waitcnt vmcnt(2) lgkmcnt(4)
	v_mul_f64 v[87:88], v[13:14], v[61:62]
	v_mul_f64 v[49:50], v[1:2], v[35:36]
	;; [unrolled: 1-line block ×3, first 2 shown]
	s_waitcnt vmcnt(1) lgkmcnt(1)
	v_mul_f64 v[89:90], v[17:18], v[73:74]
	s_waitcnt vmcnt(0) lgkmcnt(0)
	v_mul_f64 v[91:92], v[21:22], v[77:78]
	v_mul_f64 v[77:78], v[23:24], v[77:78]
	;; [unrolled: 1-line block ×6, first 2 shown]
	v_fma_f64 v[3:4], v[3:4], v[33:34], v[49:50]
	v_fma_f64 v[0:1], v[33:34], v[1:2], -v[35:36]
	v_fma_f64 v[7:8], v[7:8], v[37:38], v[51:52]
	v_fma_f64 v[33:34], v[37:38], v[5:6], -v[39:40]
	v_fma_f64 v[19:20], v[19:20], v[71:72], v[89:90]
	v_fma_f64 v[23:24], v[23:24], v[75:76], v[91:92]
	v_fma_f64 v[49:50], v[75:76], v[21:22], -v[77:78]
	v_fma_f64 v[15:16], v[15:16], v[59:60], v[87:88]
	v_fma_f64 v[39:40], v[71:72], v[17:18], -v[73:74]
	;; [unrolled: 2-line block ×3, first 2 shown]
	v_fma_f64 v[35:36], v[55:56], v[9:10], -v[57:58]
	v_add_f64 v[2:3], v[27:28], -v[3:4]
	v_add_f64 v[6:7], v[31:32], -v[7:8]
	;; [unrolled: 1-line block ×12, first 2 shown]
	v_fma_f64 v[31:32], v[31:32], 2.0, -v[6:7]
	v_fma_f64 v[29:30], v[29:30], 2.0, -v[4:5]
	;; [unrolled: 1-line block ×10, first 2 shown]
	global_store_dwordx4 v[85:86], v[20:23], off offset:896
	global_store_dwordx4 v[85:86], v[16:19], off offset:1728
	;; [unrolled: 1-line block ×4, first 2 shown]
	global_store_dwordx4 v[83:84], v[51:54], off
	global_store_dwordx4 v[83:84], v[47:50], off offset:832
	global_store_dwordx4 v[83:84], v[37:40], off offset:1664
	;; [unrolled: 1-line block ×3, first 2 shown]
	v_lshlrev_b64 v[8:9], 4, v[81:82]
	v_lshrrev_b32_e32 v10, 3, v79
	v_add_co_u32_e32 v8, vcc, v83, v8
	v_mul_hi_u32 v10, v10, s1
	v_addc_co_u32_e32 v9, vcc, v84, v9, vcc
	v_fma_f64 v[27:28], v[27:28], 2.0, -v[2:3]
	v_fma_f64 v[25:26], v[25:26], 2.0, -v[0:1]
	global_store_dwordx4 v[8:9], v[29:32], off offset:3328
	v_add_co_u32_e32 v8, vcc, s0, v8
	v_addc_co_u32_e32 v9, vcc, 0, v9, vcc
	global_store_dwordx4 v[8:9], v[4:7], off offset:128
	s_nop 0
	v_lshrrev_b32_e32 v4, 2, v10
	v_mad_u32_u24 v79, v4, s2, v79
	v_lshlrev_b64 v[4:5], 4, v[79:80]
	v_add_co_u32_e32 v4, vcc, v93, v4
	v_addc_co_u32_e32 v5, vcc, v94, v5, vcc
	global_store_dwordx4 v[4:5], v[25:28], off
	v_add_co_u32_e32 v4, vcc, 0x1000, v4
	v_addc_co_u32_e32 v5, vcc, 0, v5, vcc
	global_store_dwordx4 v[4:5], v[0:3], off offset:896
.LBB0_15:
	s_endpgm
	.section	.rodata,"a",@progbits
	.p2align	6, 0x0
	.amdhsa_kernel fft_rtc_fwd_len624_factors_13_4_6_2_wgs_52_tpt_52_dp_ip_CI_unitstride_sbrr_dirReg
		.amdhsa_group_segment_fixed_size 0
		.amdhsa_private_segment_fixed_size 0
		.amdhsa_kernarg_size 88
		.amdhsa_user_sgpr_count 6
		.amdhsa_user_sgpr_private_segment_buffer 1
		.amdhsa_user_sgpr_dispatch_ptr 0
		.amdhsa_user_sgpr_queue_ptr 0
		.amdhsa_user_sgpr_kernarg_segment_ptr 1
		.amdhsa_user_sgpr_dispatch_id 0
		.amdhsa_user_sgpr_flat_scratch_init 0
		.amdhsa_user_sgpr_private_segment_size 0
		.amdhsa_uses_dynamic_stack 0
		.amdhsa_system_sgpr_private_segment_wavefront_offset 0
		.amdhsa_system_sgpr_workgroup_id_x 1
		.amdhsa_system_sgpr_workgroup_id_y 0
		.amdhsa_system_sgpr_workgroup_id_z 0
		.amdhsa_system_sgpr_workgroup_info 0
		.amdhsa_system_vgpr_workitem_id 0
		.amdhsa_next_free_vgpr 123
		.amdhsa_next_free_sgpr 40
		.amdhsa_reserve_vcc 1
		.amdhsa_reserve_flat_scratch 0
		.amdhsa_float_round_mode_32 0
		.amdhsa_float_round_mode_16_64 0
		.amdhsa_float_denorm_mode_32 3
		.amdhsa_float_denorm_mode_16_64 3
		.amdhsa_dx10_clamp 1
		.amdhsa_ieee_mode 1
		.amdhsa_fp16_overflow 0
		.amdhsa_exception_fp_ieee_invalid_op 0
		.amdhsa_exception_fp_denorm_src 0
		.amdhsa_exception_fp_ieee_div_zero 0
		.amdhsa_exception_fp_ieee_overflow 0
		.amdhsa_exception_fp_ieee_underflow 0
		.amdhsa_exception_fp_ieee_inexact 0
		.amdhsa_exception_int_div_zero 0
	.end_amdhsa_kernel
	.text
.Lfunc_end0:
	.size	fft_rtc_fwd_len624_factors_13_4_6_2_wgs_52_tpt_52_dp_ip_CI_unitstride_sbrr_dirReg, .Lfunc_end0-fft_rtc_fwd_len624_factors_13_4_6_2_wgs_52_tpt_52_dp_ip_CI_unitstride_sbrr_dirReg
                                        ; -- End function
	.section	.AMDGPU.csdata,"",@progbits
; Kernel info:
; codeLenInByte = 8532
; NumSgprs: 44
; NumVgprs: 123
; ScratchSize: 0
; MemoryBound: 1
; FloatMode: 240
; IeeeMode: 1
; LDSByteSize: 0 bytes/workgroup (compile time only)
; SGPRBlocks: 5
; VGPRBlocks: 30
; NumSGPRsForWavesPerEU: 44
; NumVGPRsForWavesPerEU: 123
; Occupancy: 2
; WaveLimiterHint : 1
; COMPUTE_PGM_RSRC2:SCRATCH_EN: 0
; COMPUTE_PGM_RSRC2:USER_SGPR: 6
; COMPUTE_PGM_RSRC2:TRAP_HANDLER: 0
; COMPUTE_PGM_RSRC2:TGID_X_EN: 1
; COMPUTE_PGM_RSRC2:TGID_Y_EN: 0
; COMPUTE_PGM_RSRC2:TGID_Z_EN: 0
; COMPUTE_PGM_RSRC2:TIDIG_COMP_CNT: 0
	.type	__hip_cuid_bca5bbbe9be0c7e2,@object ; @__hip_cuid_bca5bbbe9be0c7e2
	.section	.bss,"aw",@nobits
	.globl	__hip_cuid_bca5bbbe9be0c7e2
__hip_cuid_bca5bbbe9be0c7e2:
	.byte	0                               ; 0x0
	.size	__hip_cuid_bca5bbbe9be0c7e2, 1

	.ident	"AMD clang version 19.0.0git (https://github.com/RadeonOpenCompute/llvm-project roc-6.4.0 25133 c7fe45cf4b819c5991fe208aaa96edf142730f1d)"
	.section	".note.GNU-stack","",@progbits
	.addrsig
	.addrsig_sym __hip_cuid_bca5bbbe9be0c7e2
	.amdgpu_metadata
---
amdhsa.kernels:
  - .args:
      - .actual_access:  read_only
        .address_space:  global
        .offset:         0
        .size:           8
        .value_kind:     global_buffer
      - .offset:         8
        .size:           8
        .value_kind:     by_value
      - .actual_access:  read_only
        .address_space:  global
        .offset:         16
        .size:           8
        .value_kind:     global_buffer
      - .actual_access:  read_only
        .address_space:  global
        .offset:         24
        .size:           8
        .value_kind:     global_buffer
      - .offset:         32
        .size:           8
        .value_kind:     by_value
      - .actual_access:  read_only
        .address_space:  global
        .offset:         40
        .size:           8
        .value_kind:     global_buffer
      - .actual_access:  read_only
        .address_space:  global
        .offset:         48
        .size:           8
        .value_kind:     global_buffer
      - .offset:         56
        .size:           4
        .value_kind:     by_value
      - .actual_access:  read_only
        .address_space:  global
        .offset:         64
        .size:           8
        .value_kind:     global_buffer
      - .actual_access:  read_only
        .address_space:  global
        .offset:         72
        .size:           8
        .value_kind:     global_buffer
      - .address_space:  global
        .offset:         80
        .size:           8
        .value_kind:     global_buffer
    .group_segment_fixed_size: 0
    .kernarg_segment_align: 8
    .kernarg_segment_size: 88
    .language:       OpenCL C
    .language_version:
      - 2
      - 0
    .max_flat_workgroup_size: 52
    .name:           fft_rtc_fwd_len624_factors_13_4_6_2_wgs_52_tpt_52_dp_ip_CI_unitstride_sbrr_dirReg
    .private_segment_fixed_size: 0
    .sgpr_count:     44
    .sgpr_spill_count: 0
    .symbol:         fft_rtc_fwd_len624_factors_13_4_6_2_wgs_52_tpt_52_dp_ip_CI_unitstride_sbrr_dirReg.kd
    .uniform_work_group_size: 1
    .uses_dynamic_stack: false
    .vgpr_count:     123
    .vgpr_spill_count: 0
    .wavefront_size: 64
amdhsa.target:   amdgcn-amd-amdhsa--gfx906
amdhsa.version:
  - 1
  - 2
...

	.end_amdgpu_metadata
